;; amdgpu-corpus repo=zjin-lcf/HeCBench kind=compiled arch=gfx1250 opt=O3
	.amdgcn_target "amdgcn-amd-amdhsa--gfx1250"
	.amdhsa_code_object_version 6
	.text
	.protected	_Z19generate_nms_bitmapPK15HIP_vector_typeIfLj4EEPhf ; -- Begin function _Z19generate_nms_bitmapPK15HIP_vector_typeIfLj4EEPhf
	.globl	_Z19generate_nms_bitmapPK15HIP_vector_typeIfLj4EEPhf
	.p2align	8
	.type	_Z19generate_nms_bitmapPK15HIP_vector_typeIfLj4EEPhf,@function
_Z19generate_nms_bitmapPK15HIP_vector_typeIfLj4EEPhf: ; @_Z19generate_nms_bitmapPK15HIP_vector_typeIfLj4EEPhf
; %bb.0:
	s_clause 0x1
	s_load_b32 s2, s[0:1], 0x24
	s_load_b128 s[4:7], s[0:1], 0x0
	s_bfe_u32 s8, ttmp6, 0x4000c
	s_bfe_u32 s9, ttmp6, 0x40010
	s_add_co_i32 s8, s8, 1
	s_add_co_i32 s9, s9, 1
	s_and_b32 s3, ttmp6, 15
	s_bfe_u32 s10, ttmp6, 0x40004
	s_mul_i32 s8, ttmp9, s8
	s_mul_i32 s9, ttmp7, s9
	s_getreg_b32 s11, hwreg(HW_REG_IB_STS2, 6, 4)
	v_and_b32_e32 v1, 0x3ff, v0
	s_add_co_i32 s3, s3, s8
	s_add_co_i32 s10, s10, s9
	v_bfe_u32 v2, v0, 10, 10
	s_wait_kmcnt 0x0
	s_lshr_b32 s8, s2, 16
	s_and_b32 s2, s2, 0xffff
	s_cmp_eq_u32 s11, 0
	s_cselect_b32 s3, ttmp9, s3
	s_cselect_b32 s9, ttmp7, s10
	v_mad_u32 v0, s3, s2, v1
	v_mad_u32 v2, s9, s8, v2
	s_mov_b32 s2, exec_lo
	s_delay_alu instid0(VALU_DEP_1) | instskip(NEXT) | instid1(VALU_DEP_1)
	v_dual_ashrrev_i32 v1, 31, v0 :: v_dual_ashrrev_i32 v3, 31, v2
	v_lshl_add_u64 v[4:5], v[0:1], 4, s[4:5]
	s_delay_alu instid0(VALU_DEP_2)
	v_lshl_add_u64 v[6:7], v[2:3], 4, s[4:5]
	s_clause 0x1
	global_load_b32 v1, v[4:5], off offset:12
	global_load_b32 v3, v[6:7], off offset:12
	s_wait_loadcnt 0x0
	v_cmpx_lt_f32_e32 v1, v3
	s_cbranch_execz .LBB0_2
; %bb.1:
	s_clause 0x1
	global_load_b96 v[8:10], v[4:5], off
	global_load_b96 v[12:14], v[6:7], off
	s_load_b32 s0, s[0:1], 0x10
	v_lshl_add_u32 v0, v0, 12, v2
	s_wait_loadcnt 0x1
	v_dual_max_num_f32 v1, v8, v8 :: v_dual_add_f32 v4, v8, v10
	s_wait_loadcnt 0x0
	v_dual_max_num_f32 v3, v12, v12 :: v_dual_add_f32 v5, v10, v9
	v_dual_add_f32 v6, v14, v12 :: v_dual_add_f32 v7, v14, v13
	v_max_num_f32_e32 v8, v9, v9
	v_max_num_f32_e32 v9, v13, v13
	s_delay_alu instid0(VALU_DEP_3) | instskip(NEXT) | instid1(VALU_DEP_2)
	v_dual_max_num_f32 v1, v1, v3 :: v_dual_min_num_f32 v3, v4, v6
	v_dual_min_num_f32 v4, v5, v7 :: v_dual_max_num_f32 v5, v8, v9
	s_delay_alu instid0(VALU_DEP_2) | instskip(NEXT) | instid1(VALU_DEP_2)
	v_sub_f32_e32 v1, v3, v1
	v_dual_sub_f32 v3, v4, v5 :: v_dual_add_f32 v5, 1.0, v14
	s_delay_alu instid0(VALU_DEP_1) | instskip(NEXT) | instid1(VALU_DEP_1)
	v_dual_mov_b32 v7, v5 :: v_dual_add_f32 v1, 1.0, v1
	v_dual_add_f32 v3, 1.0, v3 :: v_dual_max_num_f32 v4, 0, v1
	s_delay_alu instid0(VALU_DEP_1) | instskip(NEXT) | instid1(VALU_DEP_1)
	v_max_num_f32_e32 v6, 0, v3
	v_pk_mul_f32 v[4:5], v[4:5], v[6:7]
	s_delay_alu instid0(VALU_DEP_1) | instskip(SKIP_1) | instid1(VALU_DEP_2)
	v_div_scale_f32 v1, null, v5, v5, v4
	v_div_scale_f32 v7, vcc_lo, v4, v5, v4
	v_rcp_f32_e32 v3, v1
	v_nop
	s_delay_alu instid0(TRANS32_DEP_1) | instskip(NEXT) | instid1(VALU_DEP_1)
	v_fma_f32 v6, -v1, v3, 1.0
	v_fmac_f32_e32 v3, v6, v3
	s_delay_alu instid0(VALU_DEP_1) | instskip(NEXT) | instid1(VALU_DEP_1)
	v_mul_f32_e32 v6, v7, v3
	v_fma_f32 v8, -v1, v6, v7
	s_delay_alu instid0(VALU_DEP_1) | instskip(NEXT) | instid1(VALU_DEP_1)
	v_fmac_f32_e32 v6, v8, v3
	v_fma_f32 v1, -v1, v6, v7
	s_delay_alu instid0(VALU_DEP_1) | instskip(SKIP_1) | instid1(VALU_DEP_2)
	v_div_fmas_f32 v1, v1, v3, v6
	v_cmp_neq_f32_e32 vcc_lo, 0, v14
	v_div_fixup_f32 v1, v1, v5, v4
	s_wait_kmcnt 0x0
	s_delay_alu instid0(VALU_DEP_1) | instskip(SKIP_1) | instid1(SALU_CYCLE_1)
	v_cmp_gt_f32_e64 s0, s0, v1
	s_and_b32 s0, s0, vcc_lo
	v_cndmask_b32_e64 v1, 0, 1, s0
	global_store_b8 v0, v1, s[6:7]
.LBB0_2:
	s_endpgm
	.section	.rodata,"a",@progbits
	.p2align	6, 0x0
	.amdhsa_kernel _Z19generate_nms_bitmapPK15HIP_vector_typeIfLj4EEPhf
		.amdhsa_group_segment_fixed_size 0
		.amdhsa_private_segment_fixed_size 0
		.amdhsa_kernarg_size 280
		.amdhsa_user_sgpr_count 2
		.amdhsa_user_sgpr_dispatch_ptr 0
		.amdhsa_user_sgpr_queue_ptr 0
		.amdhsa_user_sgpr_kernarg_segment_ptr 1
		.amdhsa_user_sgpr_dispatch_id 0
		.amdhsa_user_sgpr_kernarg_preload_length 0
		.amdhsa_user_sgpr_kernarg_preload_offset 0
		.amdhsa_user_sgpr_private_segment_size 0
		.amdhsa_wavefront_size32 1
		.amdhsa_uses_dynamic_stack 0
		.amdhsa_enable_private_segment 0
		.amdhsa_system_sgpr_workgroup_id_x 1
		.amdhsa_system_sgpr_workgroup_id_y 1
		.amdhsa_system_sgpr_workgroup_id_z 0
		.amdhsa_system_sgpr_workgroup_info 0
		.amdhsa_system_vgpr_workitem_id 1
		.amdhsa_next_free_vgpr 15
		.amdhsa_next_free_sgpr 12
		.amdhsa_named_barrier_count 0
		.amdhsa_reserve_vcc 1
		.amdhsa_float_round_mode_32 0
		.amdhsa_float_round_mode_16_64 0
		.amdhsa_float_denorm_mode_32 3
		.amdhsa_float_denorm_mode_16_64 3
		.amdhsa_fp16_overflow 0
		.amdhsa_memory_ordered 1
		.amdhsa_forward_progress 1
		.amdhsa_inst_pref_size 5
		.amdhsa_round_robin_scheduling 0
		.amdhsa_exception_fp_ieee_invalid_op 0
		.amdhsa_exception_fp_denorm_src 0
		.amdhsa_exception_fp_ieee_div_zero 0
		.amdhsa_exception_fp_ieee_overflow 0
		.amdhsa_exception_fp_ieee_underflow 0
		.amdhsa_exception_fp_ieee_inexact 0
		.amdhsa_exception_int_div_zero 0
	.end_amdhsa_kernel
	.text
.Lfunc_end0:
	.size	_Z19generate_nms_bitmapPK15HIP_vector_typeIfLj4EEPhf, .Lfunc_end0-_Z19generate_nms_bitmapPK15HIP_vector_typeIfLj4EEPhf
                                        ; -- End function
	.set _Z19generate_nms_bitmapPK15HIP_vector_typeIfLj4EEPhf.num_vgpr, 15
	.set _Z19generate_nms_bitmapPK15HIP_vector_typeIfLj4EEPhf.num_agpr, 0
	.set _Z19generate_nms_bitmapPK15HIP_vector_typeIfLj4EEPhf.numbered_sgpr, 12
	.set _Z19generate_nms_bitmapPK15HIP_vector_typeIfLj4EEPhf.num_named_barrier, 0
	.set _Z19generate_nms_bitmapPK15HIP_vector_typeIfLj4EEPhf.private_seg_size, 0
	.set _Z19generate_nms_bitmapPK15HIP_vector_typeIfLj4EEPhf.uses_vcc, 1
	.set _Z19generate_nms_bitmapPK15HIP_vector_typeIfLj4EEPhf.uses_flat_scratch, 0
	.set _Z19generate_nms_bitmapPK15HIP_vector_typeIfLj4EEPhf.has_dyn_sized_stack, 0
	.set _Z19generate_nms_bitmapPK15HIP_vector_typeIfLj4EEPhf.has_recursion, 0
	.set _Z19generate_nms_bitmapPK15HIP_vector_typeIfLj4EEPhf.has_indirect_call, 0
	.section	.AMDGPU.csdata,"",@progbits
; Kernel info:
; codeLenInByte = 532
; TotalNumSgprs: 14
; NumVgprs: 15
; ScratchSize: 0
; MemoryBound: 0
; FloatMode: 240
; IeeeMode: 1
; LDSByteSize: 0 bytes/workgroup (compile time only)
; SGPRBlocks: 0
; VGPRBlocks: 0
; NumSGPRsForWavesPerEU: 14
; NumVGPRsForWavesPerEU: 15
; NamedBarCnt: 0
; Occupancy: 16
; WaveLimiterHint : 0
; COMPUTE_PGM_RSRC2:SCRATCH_EN: 0
; COMPUTE_PGM_RSRC2:USER_SGPR: 2
; COMPUTE_PGM_RSRC2:TRAP_HANDLER: 0
; COMPUTE_PGM_RSRC2:TGID_X_EN: 1
; COMPUTE_PGM_RSRC2:TGID_Y_EN: 1
; COMPUTE_PGM_RSRC2:TGID_Z_EN: 0
; COMPUTE_PGM_RSRC2:TIDIG_COMP_CNT: 1
	.text
	.protected	_Z17reduce_nms_bitmapPhS_i ; -- Begin function _Z17reduce_nms_bitmapPhS_i
	.globl	_Z17reduce_nms_bitmapPhS_i
	.p2align	8
	.type	_Z17reduce_nms_bitmapPhS_i,@function
_Z17reduce_nms_bitmapPhS_i:             ; @_Z17reduce_nms_bitmapPhS_i
; %bb.0:
	s_load_b128 s[4:7], s[0:1], 0x0
	s_bfe_u32 s2, ttmp6, 0x4000c
	s_and_b32 s3, ttmp6, 15
	s_add_co_i32 s2, s2, 1
	s_getreg_b32 s8, hwreg(HW_REG_IB_STS2, 6, 4)
	s_mul_i32 s2, ttmp9, s2
	v_and_b32_e32 v2, 0x3ff, v0
	s_add_co_i32 s3, s3, s2
	s_cmp_eq_u32 s8, 0
	s_load_b64 s[8:9], s[0:1], 0x24
	s_cselect_b32 s2, ttmp9, s3
	v_dual_mov_b32 v4, -1 :: v_dual_mov_b32 v5, -1
	v_lshl_or_b32 v1, s2, 12, v2
	v_mov_b32_e32 v7, -1
	s_wait_kmcnt 0x0
	global_load_u8 v3, v1, s[4:5]
	s_lshr_b32 s0, s8, 16
	s_and_b32 s3, s8, 0xffff
	s_and_b32 s8, s9, 0xffff
	s_mul_i32 s1, s0, s3
	s_delay_alu instid0(SALU_CYCLE_1) | instskip(NEXT) | instid1(SALU_CYCLE_1)
	s_bfe_i32 s1, s1, 0x180000
	s_mul_i32 s1, s1, s8
	s_delay_alu instid0(SALU_CYCLE_1) | instskip(NEXT) | instid1(SALU_CYCLE_1)
	s_add_co_i32 s1, s1, 31
	s_and_not1_b32 s1, s1, 31
	s_delay_alu instid0(SALU_CYCLE_1)
	s_cmp_lg_u32 s1, 32
	s_cselect_b32 s1, -1, 0
	s_wait_loadcnt 0x0
	v_cmp_ne_u16_e32 vcc_lo, 0, v3
	v_cndmask_b32_e64 v3, 0, 1, vcc_lo
	s_and_b32 vcc_lo, exec_lo, s1
	s_delay_alu instid0(VALU_DEP_1) | instskip(NEXT) | instid1(VALU_DEP_1)
	v_mov_b32_dpp v4, v3 row_shl:1 row_mask:0xf bank_mask:0xf
	v_and_b32_e32 v6, v4, v3
	s_delay_alu instid0(VALU_DEP_1) | instskip(NEXT) | instid1(VALU_DEP_1)
	v_mov_b32_dpp v5, v6 row_shl:2 row_mask:0xf bank_mask:0xf
	v_bitop3_b32 v3, v4, v5, v3 bitop3:0x80
	v_mov_b32_e32 v4, -1
	s_delay_alu instid0(VALU_DEP_2) | instskip(NEXT) | instid1(VALU_DEP_1)
	v_mov_b32_dpp v7, v3 row_shl:4 row_mask:0xf bank_mask:0xf
	v_bitop3_b32 v5, v6, v7, v5 bitop3:0x80
	s_delay_alu instid0(VALU_DEP_1) | instskip(SKIP_1) | instid1(VALU_DEP_2)
	v_mov_b32_dpp v4, v5 row_shl:8 row_mask:0xf bank_mask:0xf
	v_mov_b32_e32 v5, -1
	v_bitop3_b32 v3, v3, v4, v7 bitop3:0x80
	v_mov_b32_e32 v4, -1
	v_bfe_u32 v7, v0, 20, 10
	s_delay_alu instid0(VALU_DEP_3) | instskip(SKIP_2) | instid1(VALU_DEP_3)
	v_mov_b32_dpp v5, v3 row_share:0 row_mask:0xf bank_mask:0xf
	v_bfe_u32 v3, v0, 10, 10
	v_mbcnt_lo_u32_b32 v0, -1, 0
	v_permlanex16_b32 v4, v5, 0, 0
	s_delay_alu instid0(VALU_DEP_3) | instskip(NEXT) | instid1(VALU_DEP_2)
	v_mad_u32_u24 v7, v7, s0, v3
	v_and_b32_e32 v6, v4, v5
	s_cbranch_vccz .LBB1_9
; %bb.1:
	s_delay_alu instid0(VALU_DEP_2) | instskip(SKIP_1) | instid1(VALU_DEP_1)
	v_mad_u32 v3, v7, s3, v2
	s_mov_b32 s0, exec_lo
	v_lshrrev_b32_e32 v5, 5, v3
	s_delay_alu instid0(VALU_DEP_1) | instskip(NEXT) | instid1(VALU_DEP_1)
	v_or_b32_e32 v4, v0, v5
	v_cmpx_eq_u32_e32 0, v4
; %bb.2:
	v_mov_b32_e32 v4, 0
	ds_store_b32 v4, v6
; %bb.3:
	s_or_b32 exec_lo, exec_lo, s0
	v_cmp_eq_u32_e32 vcc_lo, 0, v0
	v_cmp_lt_u32_e64 s0, 31, v3
	s_wait_dscnt 0x0
	s_barrier_signal -1
	s_barrier_wait -1
	s_and_b32 s8, s0, vcc_lo
	s_delay_alu instid0(SALU_CYCLE_1)
	s_and_saveexec_b32 s0, s8
	s_cbranch_execz .LBB1_8
; %bb.4:
	s_mov_b32 s9, exec_lo
	s_mov_b32 s8, -1
.LBB1_5:                                ; =>This Inner Loop Header: Depth=1
	s_ctz_i32_b32 s10, s9
	s_delay_alu instid0(SALU_CYCLE_1) | instskip(SKIP_1) | instid1(SALU_CYCLE_1)
	v_readlane_b32 s11, v6, s10
	s_lshl_b32 s10, 1, s10
	s_and_not1_b32 s9, s9, s10
	s_and_b32 s8, s8, s11
	s_cmp_lg_u32 s9, 0
	s_cbranch_scc1 .LBB1_5
; %bb.6:
	v_mbcnt_lo_u32_b32 v4, exec_lo, 0
	s_mov_b32 s9, exec_lo
	s_delay_alu instid0(VALU_DEP_1)
	v_cmpx_eq_u32_e32 0, v4
	s_xor_b32 s9, exec_lo, s9
; %bb.7:
	v_dual_mov_b32 v4, 0 :: v_dual_mov_b32 v8, s8
	ds_and_b32 v4, v8
.LBB1_8:
	s_or_b32 exec_lo, exec_lo, s0
	v_mov_b32_e32 v4, 0
	s_wait_dscnt 0x0
	s_barrier_signal -1
	s_barrier_wait -1
	ds_load_b32 v4, v4
	s_wait_dscnt 0x0
	s_barrier_signal -1
	s_barrier_wait -1
	s_branch .LBB1_11
.LBB1_9:
                                        ; implicit-def: $vgpr4
                                        ; implicit-def: $vgpr3
                                        ; implicit-def: $vgpr5
	s_cbranch_execz .LBB1_11
; %bb.10:
	s_delay_alu instid0(VALU_DEP_2) | instskip(NEXT) | instid1(VALU_DEP_1)
	v_mad_u32 v3, v7, s3, v2
	v_dual_mov_b32 v4, v6 :: v_dual_lshrrev_b32 v5, 5, v3
.LBB1_11:
	s_delay_alu instid0(VALU_DEP_1)
	v_dual_mov_b32 v6, s2 :: v_dual_bitop2_b32 v2, v0, v5 bitop3:0x54
	v_cmp_lt_u32_e64 s0, 31, v3
	v_mov_b32_e32 v3, 0
	s_mov_b32 s3, 0
	global_store_b8 v6, v4, s[6:7]
	s_add_nc_u64 s[8:9], s[6:7], s[2:3]
	s_branch .LBB1_14
.LBB1_12:                               ;   in Loop: Header=BB1_14 Depth=1
	s_or_b32 exec_lo, exec_lo, s2
	s_wait_dscnt 0x0
	s_barrier_signal -1
	s_barrier_wait -1
	ds_load_b32 v4, v3
	s_wait_dscnt 0x0
	s_barrier_signal -1
	s_barrier_wait -1
.LBB1_13:                               ;   in Loop: Header=BB1_14 Depth=1
	v_add_nc_u32_e32 v1, 0x80, v1
	s_add_co_i32 s3, s3, 1
	global_store_b8 v3, v4, s[8:9]
	s_cmp_eq_u32 s3, 31
	s_cbranch_scc1 .LBB1_24
.LBB1_14:                               ; =>This Loop Header: Depth=1
                                        ;     Child Loop BB1_21 Depth 2
	s_wait_xcnt 0x0
	v_and_b32_e32 v4, 0xff, v4
	s_delay_alu instid0(VALU_DEP_1)
	v_cmp_ne_u16_e32 vcc_lo, 0, v4
	v_mov_b32_e32 v4, 0
	s_and_saveexec_b32 s2, vcc_lo
	s_cbranch_execz .LBB1_16
; %bb.15:                               ;   in Loop: Header=BB1_14 Depth=1
	global_load_u8 v4, v1, s[4:5] offset:128
	s_wait_loadcnt 0x0
	v_cmp_ne_u16_e32 vcc_lo, 0, v4
	v_cndmask_b32_e64 v4, 0, 1, vcc_lo
.LBB1_16:                               ;   in Loop: Header=BB1_14 Depth=1
	s_wait_xcnt 0x0
	s_or_b32 exec_lo, exec_lo, s2
	v_dual_mov_b32 v5, -1 :: v_dual_mov_b32 v6, -1
	s_and_not1_b32 vcc_lo, exec_lo, s1
	v_mov_b32_e32 v8, -1
	s_delay_alu instid0(VALU_DEP_2) | instskip(NEXT) | instid1(VALU_DEP_1)
	v_mov_b32_dpp v5, v4 row_shl:1 row_mask:0xf bank_mask:0xf
	v_and_b32_e32 v7, v5, v4
	s_delay_alu instid0(VALU_DEP_1) | instskip(NEXT) | instid1(VALU_DEP_1)
	v_mov_b32_dpp v6, v7 row_shl:2 row_mask:0xf bank_mask:0xf
	v_bitop3_b32 v4, v5, v6, v4 bitop3:0x80
	v_mov_b32_e32 v5, -1
	s_delay_alu instid0(VALU_DEP_2) | instskip(NEXT) | instid1(VALU_DEP_1)
	v_mov_b32_dpp v8, v4 row_shl:4 row_mask:0xf bank_mask:0xf
	v_bitop3_b32 v6, v7, v8, v6 bitop3:0x80
	s_delay_alu instid0(VALU_DEP_1) | instskip(SKIP_1) | instid1(VALU_DEP_2)
	v_mov_b32_dpp v5, v6 row_shl:8 row_mask:0xf bank_mask:0xf
	v_mov_b32_e32 v6, -1
	v_bitop3_b32 v4, v4, v5, v8 bitop3:0x80
	s_delay_alu instid0(VALU_DEP_1) | instskip(SKIP_1) | instid1(VALU_DEP_1)
	v_mov_b32_dpp v6, v4 row_share:0 row_mask:0xf bank_mask:0xf
	v_mov_b32_e32 v4, -1
	v_permlanex16_b32 v4, v6, 0, 0
	s_delay_alu instid0(VALU_DEP_1)
	v_and_b32_e32 v4, v4, v6
	s_cbranch_vccnz .LBB1_13
; %bb.17:                               ;   in Loop: Header=BB1_14 Depth=1
	s_mov_b32 s2, exec_lo
	v_cmpx_eq_u32_e32 0, v2
; %bb.18:                               ;   in Loop: Header=BB1_14 Depth=1
	ds_store_b32 v3, v4
; %bb.19:                               ;   in Loop: Header=BB1_14 Depth=1
	s_or_b32 exec_lo, exec_lo, s2
	v_cmp_eq_u32_e32 vcc_lo, 0, v0
	s_wait_storecnt_dscnt 0x0
	s_barrier_signal -1
	s_barrier_wait -1
	s_and_b32 s6, s0, vcc_lo
	s_delay_alu instid0(SALU_CYCLE_1)
	s_and_saveexec_b32 s2, s6
	s_cbranch_execz .LBB1_12
; %bb.20:                               ;   in Loop: Header=BB1_14 Depth=1
	s_mov_b32 s7, exec_lo
	s_mov_b32 s6, -1
.LBB1_21:                               ;   Parent Loop BB1_14 Depth=1
                                        ; =>  This Inner Loop Header: Depth=2
	s_ctz_i32_b32 s10, s7
	s_delay_alu instid0(SALU_CYCLE_1) | instskip(SKIP_1) | instid1(SALU_CYCLE_1)
	v_readlane_b32 s11, v4, s10
	s_lshl_b32 s10, 1, s10
	s_and_not1_b32 s7, s7, s10
	s_and_b32 s6, s6, s11
	s_cmp_lg_u32 s7, 0
	s_cbranch_scc1 .LBB1_21
; %bb.22:                               ;   in Loop: Header=BB1_14 Depth=1
	v_mbcnt_lo_u32_b32 v4, exec_lo, 0
	s_mov_b32 s7, exec_lo
	s_delay_alu instid0(VALU_DEP_1)
	v_cmpx_eq_u32_e32 0, v4
	s_xor_b32 s7, exec_lo, s7
	s_cbranch_execz .LBB1_12
; %bb.23:                               ;   in Loop: Header=BB1_14 Depth=1
	v_mov_b32_e32 v4, s6
	ds_and_b32 v3, v4
	s_branch .LBB1_12
.LBB1_24:
	s_endpgm
	.section	.rodata,"a",@progbits
	.p2align	6, 0x0
	.amdhsa_kernel _Z17reduce_nms_bitmapPhS_i
		.amdhsa_group_segment_fixed_size 256
		.amdhsa_private_segment_fixed_size 0
		.amdhsa_kernarg_size 280
		.amdhsa_user_sgpr_count 2
		.amdhsa_user_sgpr_dispatch_ptr 0
		.amdhsa_user_sgpr_queue_ptr 0
		.amdhsa_user_sgpr_kernarg_segment_ptr 1
		.amdhsa_user_sgpr_dispatch_id 0
		.amdhsa_user_sgpr_kernarg_preload_length 0
		.amdhsa_user_sgpr_kernarg_preload_offset 0
		.amdhsa_user_sgpr_private_segment_size 0
		.amdhsa_wavefront_size32 1
		.amdhsa_uses_dynamic_stack 0
		.amdhsa_enable_private_segment 0
		.amdhsa_system_sgpr_workgroup_id_x 1
		.amdhsa_system_sgpr_workgroup_id_y 0
		.amdhsa_system_sgpr_workgroup_id_z 0
		.amdhsa_system_sgpr_workgroup_info 0
		.amdhsa_system_vgpr_workitem_id 2
		.amdhsa_next_free_vgpr 9
		.amdhsa_next_free_sgpr 12
		.amdhsa_named_barrier_count 0
		.amdhsa_reserve_vcc 1
		.amdhsa_float_round_mode_32 0
		.amdhsa_float_round_mode_16_64 0
		.amdhsa_float_denorm_mode_32 3
		.amdhsa_float_denorm_mode_16_64 3
		.amdhsa_fp16_overflow 0
		.amdhsa_memory_ordered 1
		.amdhsa_forward_progress 1
		.amdhsa_inst_pref_size 9
		.amdhsa_round_robin_scheduling 0
		.amdhsa_exception_fp_ieee_invalid_op 0
		.amdhsa_exception_fp_denorm_src 0
		.amdhsa_exception_fp_ieee_div_zero 0
		.amdhsa_exception_fp_ieee_overflow 0
		.amdhsa_exception_fp_ieee_underflow 0
		.amdhsa_exception_fp_ieee_inexact 0
		.amdhsa_exception_int_div_zero 0
	.end_amdhsa_kernel
	.text
.Lfunc_end1:
	.size	_Z17reduce_nms_bitmapPhS_i, .Lfunc_end1-_Z17reduce_nms_bitmapPhS_i
                                        ; -- End function
	.set _Z17reduce_nms_bitmapPhS_i.num_vgpr, 9
	.set _Z17reduce_nms_bitmapPhS_i.num_agpr, 0
	.set _Z17reduce_nms_bitmapPhS_i.numbered_sgpr, 12
	.set _Z17reduce_nms_bitmapPhS_i.num_named_barrier, 0
	.set _Z17reduce_nms_bitmapPhS_i.private_seg_size, 0
	.set _Z17reduce_nms_bitmapPhS_i.uses_vcc, 1
	.set _Z17reduce_nms_bitmapPhS_i.uses_flat_scratch, 0
	.set _Z17reduce_nms_bitmapPhS_i.has_dyn_sized_stack, 0
	.set _Z17reduce_nms_bitmapPhS_i.has_recursion, 0
	.set _Z17reduce_nms_bitmapPhS_i.has_indirect_call, 0
	.section	.AMDGPU.csdata,"",@progbits
; Kernel info:
; codeLenInByte = 1044
; TotalNumSgprs: 14
; NumVgprs: 9
; ScratchSize: 0
; MemoryBound: 0
; FloatMode: 240
; IeeeMode: 1
; LDSByteSize: 256 bytes/workgroup (compile time only)
; SGPRBlocks: 0
; VGPRBlocks: 0
; NumSGPRsForWavesPerEU: 14
; NumVGPRsForWavesPerEU: 9
; NamedBarCnt: 0
; Occupancy: 16
; WaveLimiterHint : 0
; COMPUTE_PGM_RSRC2:SCRATCH_EN: 0
; COMPUTE_PGM_RSRC2:USER_SGPR: 2
; COMPUTE_PGM_RSRC2:TRAP_HANDLER: 0
; COMPUTE_PGM_RSRC2:TGID_X_EN: 1
; COMPUTE_PGM_RSRC2:TGID_Y_EN: 0
; COMPUTE_PGM_RSRC2:TGID_Z_EN: 0
; COMPUTE_PGM_RSRC2:TIDIG_COMP_CNT: 2
	.text
	.p2alignl 7, 3214868480
	.fill 96, 4, 3214868480
	.section	.AMDGPU.gpr_maximums,"",@progbits
	.set amdgpu.max_num_vgpr, 0
	.set amdgpu.max_num_agpr, 0
	.set amdgpu.max_num_sgpr, 0
	.text
	.type	__hip_cuid_19d7f408d287859e,@object ; @__hip_cuid_19d7f408d287859e
	.section	.bss,"aw",@nobits
	.globl	__hip_cuid_19d7f408d287859e
__hip_cuid_19d7f408d287859e:
	.byte	0                               ; 0x0
	.size	__hip_cuid_19d7f408d287859e, 1

	.ident	"AMD clang version 22.0.0git (https://github.com/RadeonOpenCompute/llvm-project roc-7.2.4 26084 f58b06dce1f9c15707c5f808fd002e18c2accf7e)"
	.section	".note.GNU-stack","",@progbits
	.addrsig
	.addrsig_sym __hip_cuid_19d7f408d287859e
	.amdgpu_metadata
---
amdhsa.kernels:
  - .args:
      - .address_space:  global
        .offset:         0
        .size:           8
        .value_kind:     global_buffer
      - .address_space:  global
        .offset:         8
        .size:           8
        .value_kind:     global_buffer
      - .offset:         16
        .size:           4
        .value_kind:     by_value
      - .offset:         24
        .size:           4
        .value_kind:     hidden_block_count_x
      - .offset:         28
        .size:           4
        .value_kind:     hidden_block_count_y
      - .offset:         32
        .size:           4
        .value_kind:     hidden_block_count_z
      - .offset:         36
        .size:           2
        .value_kind:     hidden_group_size_x
      - .offset:         38
        .size:           2
        .value_kind:     hidden_group_size_y
      - .offset:         40
        .size:           2
        .value_kind:     hidden_group_size_z
      - .offset:         42
        .size:           2
        .value_kind:     hidden_remainder_x
      - .offset:         44
        .size:           2
        .value_kind:     hidden_remainder_y
      - .offset:         46
        .size:           2
        .value_kind:     hidden_remainder_z
      - .offset:         64
        .size:           8
        .value_kind:     hidden_global_offset_x
      - .offset:         72
        .size:           8
        .value_kind:     hidden_global_offset_y
      - .offset:         80
        .size:           8
        .value_kind:     hidden_global_offset_z
      - .offset:         88
        .size:           2
        .value_kind:     hidden_grid_dims
    .group_segment_fixed_size: 0
    .kernarg_segment_align: 8
    .kernarg_segment_size: 280
    .language:       OpenCL C
    .language_version:
      - 2
      - 0
    .max_flat_workgroup_size: 1024
    .name:           _Z19generate_nms_bitmapPK15HIP_vector_typeIfLj4EEPhf
    .private_segment_fixed_size: 0
    .sgpr_count:     14
    .sgpr_spill_count: 0
    .symbol:         _Z19generate_nms_bitmapPK15HIP_vector_typeIfLj4EEPhf.kd
    .uniform_work_group_size: 1
    .uses_dynamic_stack: false
    .vgpr_count:     15
    .vgpr_spill_count: 0
    .wavefront_size: 32
  - .args:
      - .address_space:  global
        .offset:         0
        .size:           8
        .value_kind:     global_buffer
      - .address_space:  global
        .offset:         8
        .size:           8
        .value_kind:     global_buffer
      - .offset:         16
        .size:           4
        .value_kind:     by_value
      - .offset:         24
        .size:           4
        .value_kind:     hidden_block_count_x
      - .offset:         28
        .size:           4
        .value_kind:     hidden_block_count_y
      - .offset:         32
        .size:           4
        .value_kind:     hidden_block_count_z
      - .offset:         36
        .size:           2
        .value_kind:     hidden_group_size_x
      - .offset:         38
        .size:           2
        .value_kind:     hidden_group_size_y
      - .offset:         40
        .size:           2
        .value_kind:     hidden_group_size_z
      - .offset:         42
        .size:           2
        .value_kind:     hidden_remainder_x
      - .offset:         44
        .size:           2
        .value_kind:     hidden_remainder_y
      - .offset:         46
        .size:           2
        .value_kind:     hidden_remainder_z
      - .offset:         64
        .size:           8
        .value_kind:     hidden_global_offset_x
      - .offset:         72
        .size:           8
        .value_kind:     hidden_global_offset_y
      - .offset:         80
        .size:           8
        .value_kind:     hidden_global_offset_z
      - .offset:         88
        .size:           2
        .value_kind:     hidden_grid_dims
    .group_segment_fixed_size: 256
    .kernarg_segment_align: 8
    .kernarg_segment_size: 280
    .language:       OpenCL C
    .language_version:
      - 2
      - 0
    .max_flat_workgroup_size: 1024
    .name:           _Z17reduce_nms_bitmapPhS_i
    .private_segment_fixed_size: 0
    .sgpr_count:     14
    .sgpr_spill_count: 0
    .symbol:         _Z17reduce_nms_bitmapPhS_i.kd
    .uniform_work_group_size: 1
    .uses_dynamic_stack: false
    .vgpr_count:     9
    .vgpr_spill_count: 0
    .wavefront_size: 32
amdhsa.target:   amdgcn-amd-amdhsa--gfx1250
amdhsa.version:
  - 1
  - 2
...

	.end_amdgpu_metadata
